;; amdgpu-corpus repo=ROCm/rocFFT kind=compiled arch=gfx906 opt=O3
	.text
	.amdgcn_target "amdgcn-amd-amdhsa--gfx906"
	.amdhsa_code_object_version 6
	.protected	fft_rtc_fwd_len1331_factors_11_11_11_wgs_121_tpt_121_dp_op_CI_CI_sbrc_erc_z_xy_aligned ; -- Begin function fft_rtc_fwd_len1331_factors_11_11_11_wgs_121_tpt_121_dp_op_CI_CI_sbrc_erc_z_xy_aligned
	.globl	fft_rtc_fwd_len1331_factors_11_11_11_wgs_121_tpt_121_dp_op_CI_CI_sbrc_erc_z_xy_aligned
	.p2align	8
	.type	fft_rtc_fwd_len1331_factors_11_11_11_wgs_121_tpt_121_dp_op_CI_CI_sbrc_erc_z_xy_aligned,@function
fft_rtc_fwd_len1331_factors_11_11_11_wgs_121_tpt_121_dp_op_CI_CI_sbrc_erc_z_xy_aligned: ; @fft_rtc_fwd_len1331_factors_11_11_11_wgs_121_tpt_121_dp_op_CI_CI_sbrc_erc_z_xy_aligned
; %bb.0:
	s_load_dwordx8 s[16:23], s[4:5], 0x0
	v_add_u32_e32 v5, 0x79, v0
	v_add_u32_e32 v14, 0xf2, v0
	v_mov_b32_e32 v9, 0
	v_mov_b32_e32 v33, 0x3c8
	s_waitcnt lgkmcnt(0)
	s_load_dwordx4 s[0:3], s[20:21], 0x8
	s_load_dwordx4 s[36:39], s[22:23], 0x0
	s_load_dword s7, s[22:23], 0x10
	s_mov_b32 s21, 0
	s_mov_b32 s42, 0x8eee2c13
	s_waitcnt lgkmcnt(0)
	s_mul_i32 s1, s2, s0
	v_cvt_f32_u32_e32 v2, s1
	v_cvt_f32_u32_e32 v1, s0
	s_sub_i32 s2, 0, s1
	v_mov_b32_e32 v53, s38
	v_rcp_iflag_f32_e32 v2, v2
	v_rcp_iflag_f32_e32 v1, v1
	s_mov_b32 s43, 0xbfed1bb4
	s_mov_b32 s41, 0x3fd207e7
	v_mul_f32_e32 v2, 0x4f7ffffe, v2
	v_cvt_u32_f32_e32 v2, v2
	v_mul_f32_e32 v1, 0x4f7ffffe, v1
	v_cvt_u32_f32_e32 v1, v1
	s_mov_b32 s39, 0x3fefac9e
	v_readfirstlane_b32 s8, v2
	s_mul_i32 s2, s2, s8
	s_mul_hi_u32 s2, s8, s2
	s_add_i32 s8, s8, s2
	s_mul_hi_u32 s2, s6, s8
	s_mul_i32 s8, s2, s1
	s_sub_i32 s8, s6, s8
	s_add_i32 s9, s2, 1
	s_sub_i32 s10, s8, s1
	s_cmp_ge_u32 s8, s1
	s_cselect_b32 s2, s9, s2
	s_cselect_b32 s8, s10, s8
	s_add_i32 s9, s2, 1
	s_cmp_ge_u32 s8, s1
	v_readfirstlane_b32 s3, v1
	s_cselect_b32 s33, s9, s2
	s_sub_i32 s2, 0, s0
	s_mul_i32 s2, s2, s3
	s_mul_i32 s1, s33, s1
	s_mul_hi_u32 s2, s3, s2
	s_sub_i32 s1, s6, s1
	s_add_i32 s3, s3, s2
	s_mul_hi_u32 s2, s1, s3
	s_mul_i32 s8, s2, s0
	s_sub_i32 s1, s1, s8
	s_add_i32 s9, s2, 1
	s_sub_i32 s8, s1, s0
	s_cmp_ge_u32 s1, s0
	s_cselect_b32 s2, s9, s2
	s_cselect_b32 s1, s8, s1
	s_add_i32 s8, s2, 1
	s_cmp_ge_u32 s1, s0
	s_mul_hi_u32 s1, s6, s3
	s_mul_i32 s1, s1, s0
	s_cselect_b32 s44, s8, s2
	s_sub_i32 s1, s6, s1
	s_sub_i32 s2, s1, s0
	s_cmp_ge_u32 s1, s0
	s_cselect_b32 s1, s2, s1
	s_load_dwordx2 s[2:3], s[4:5], 0x20
	s_load_dwordx4 s[24:27], s[4:5], 0x58
	s_waitcnt lgkmcnt(0)
	s_load_dwordx4 s[28:31], s[2:3], 0x0
	s_sub_i32 s6, s1, s0
	s_cmp_ge_u32 s1, s0
	s_cselect_b32 s45, s6, s1
	s_mul_i32 s0, s44, s7
	s_mul_i32 s1, s45, s38
	s_add_i32 s20, s1, s0
	s_waitcnt lgkmcnt(0)
	s_mul_i32 s0, s29, s45
	s_mul_hi_u32 s1, s28, s45
	s_add_i32 s29, s1, s0
	s_lshl_b64 s[0:1], s[18:19], 3
	s_add_u32 s4, s22, s0
	s_addc_u32 s5, s23, s1
	s_load_dwordx2 s[4:5], s[4:5], 0x0
	s_movk_i32 s8, 0x16b
	s_load_dwordx2 s[34:35], s[2:3], 0x10
	v_cmp_gt_u32_e64 s[8:9], s8, v0
	s_movk_i32 s10, 0xf2
	s_waitcnt lgkmcnt(0)
	s_mul_i32 s5, s5, s33
	s_mul_hi_u32 s6, s4, s33
	s_add_i32 s5, s6, s5
	s_add_u32 s0, s2, s0
	s_addc_u32 s1, s3, s1
	s_load_dwordx2 s[18:19], s[0:1], 0x0
	v_mad_u64_u32 v[1:2], s[6:7], s36, v0, 0
	s_mul_i32 s4, s4, s33
	v_cmp_gt_u32_e64 s[10:11], s10, v0
	v_mad_u64_u32 v[2:3], s[0:1], s37, v0, v[2:3]
	s_waitcnt lgkmcnt(0)
	s_mul_i32 s0, s19, s33
	s_mul_hi_u32 s1, s18, s33
	s_add_i32 s19, s1, s0
	s_lshl_b64 s[0:1], s[4:5], 4
	s_add_u32 s2, s24, s0
	s_addc_u32 s4, s25, s1
	s_lshl_b64 s[0:1], s[20:21], 4
	s_add_u32 s14, s2, s0
	v_mad_u64_u32 v[3:4], s[2:3], s36, v5, 0
	s_addc_u32 s15, s4, s1
	v_lshlrev_b64 v[1:2], 4, v[1:2]
	v_mad_u64_u32 v[4:5], s[0:1], s37, v5, v[4:5]
	v_mov_b32_e32 v6, s15
	v_add_co_u32_e32 v5, vcc, s14, v1
	v_addc_co_u32_e32 v6, vcc, v6, v2, vcc
	v_lshlrev_b64 v[1:2], 4, v[3:4]
	v_mov_b32_e32 v3, s15
	v_add_co_u32_e32 v7, vcc, s14, v1
	v_addc_co_u32_e32 v8, vcc, v3, v2, vcc
	s_movk_i32 s0, 0x3c8
	global_load_dwordx4 v[1:4], v[5:6], off
	global_load_dwordx4 v[10:13], v[7:8], off
	v_mov_b32_e32 v5, 0xfffffc38
	v_mov_b32_e32 v6, 0x16b
	v_cmp_gt_u32_e32 vcc, s0, v0
	v_cndmask_b32_e32 v15, v5, v6, vcc
	v_mad_u64_u32 v[5:6], s[0:1], s36, v14, 0
	s_movk_i32 s3, 0x34f
	v_mov_b32_e32 v7, 0xfffffcb1
	v_mov_b32_e32 v8, 0x1e4
	v_cmp_gt_u32_e32 vcc, s3, v0
	v_cndmask_b32_e32 v8, v7, v8, vcc
	v_mad_u64_u32 v[6:7], s[0:1], s37, v14, v[6:7]
	v_add_u32_e32 v51, v0, v15
	v_mad_u64_u32 v[14:15], s[0:1], s36, v51, 0
	v_lshlrev_b64 v[5:6], 4, v[5:6]
	v_mov_b32_e32 v7, s15
	v_add_co_u32_e32 v5, vcc, s14, v5
	v_addc_co_u32_e32 v6, vcc, v7, v6, vcc
	v_mov_b32_e32 v7, v15
	v_add_u32_e32 v52, v0, v8
	v_mad_u64_u32 v[7:8], s[0:1], s37, v51, v[7:8]
	v_mad_u64_u32 v[22:23], s[0:1], s36, v52, 0
	v_mov_b32_e32 v15, v7
	v_lshlrev_b64 v[14:15], 4, v[14:15]
	s_movk_i32 s2, 0x3c7
	v_mov_b32_e32 v7, s15
	v_add_co_u32_e64 v16, s[0:1], s14, v14
	v_cmp_lt_u32_e32 vcc, s2, v0
	v_addc_co_u32_e64 v15, s[0:1], v7, v15, s[0:1]
	v_mov_b32_e32 v14, v23
	v_cndmask_b32_e32 v8, 0, v53, vcc
	v_mad_u64_u32 v[23:24], s[0:1], s37, v52, v[14:15]
	v_lshlrev_b64 v[7:8], 4, v[8:9]
	s_movk_i32 s2, 0x2d6
	v_add_co_u32_e64 v7, s[0:1], v16, v7
	v_addc_co_u32_e64 v8, s[0:1], v15, v8, s[0:1]
	global_load_dwordx4 v[14:17], v[5:6], off
	global_load_dwordx4 v[18:21], v[7:8], off
	v_lshlrev_b64 v[5:6], 4, v[22:23]
	v_mov_b32_e32 v22, 0xfffffd2a
	v_mov_b32_e32 v23, 0x25d
	v_cmp_gt_u32_e64 s[2:3], s2, v0
	v_cndmask_b32_e64 v22, v22, v23, s[2:3]
	v_add_u32_e32 v54, v0, v22
	v_mad_u64_u32 v[22:23], s[2:3], s36, v54, 0
	s_movk_i32 s0, 0x34e
	v_cmp_lt_u32_e64 s[0:1], s0, v0
	v_cndmask_b32_e64 v8, 0, v53, s[0:1]
	v_mov_b32_e32 v7, s15
	v_add_co_u32_e64 v24, s[2:3], s14, v5
	v_addc_co_u32_e64 v25, s[2:3], v7, v6, s[2:3]
	v_lshlrev_b64 v[5:6], 4, v[8:9]
	v_mov_b32_e32 v7, v23
	v_mad_u64_u32 v[7:8], s[2:3], s37, v54, v[7:8]
	v_add_co_u32_e64 v5, s[2:3], v24, v5
	s_movk_i32 s4, 0x25d
	v_addc_co_u32_e64 v6, s[2:3], v25, v6, s[2:3]
	v_mov_b32_e32 v24, 0xfffffda3
	v_mov_b32_e32 v25, 0x2d6
	v_cmp_gt_u32_e64 s[4:5], s4, v0
	v_cndmask_b32_e64 v24, v24, v25, s[4:5]
	v_add_u32_e32 v55, v0, v24
	v_mov_b32_e32 v23, v7
	v_mad_u64_u32 v[26:27], s[4:5], s36, v55, 0
	v_lshlrev_b64 v[22:23], 4, v[22:23]
	s_movk_i32 s2, 0x2d5
	v_mov_b32_e32 v7, s15
	v_add_co_u32_e64 v24, s[4:5], s14, v22
	v_cmp_lt_u32_e64 s[2:3], s2, v0
	v_addc_co_u32_e64 v23, s[4:5], v7, v23, s[4:5]
	v_mov_b32_e32 v22, v27
	v_cndmask_b32_e64 v8, 0, v53, s[2:3]
	v_mad_u64_u32 v[27:28], s[4:5], s37, v55, v[22:23]
	v_lshlrev_b64 v[7:8], 4, v[8:9]
	s_movk_i32 s20, 0x79
	v_add_co_u32_e64 v7, s[4:5], v24, v7
	v_addc_co_u32_e64 v8, s[4:5], v23, v8, s[4:5]
	global_load_dwordx4 v[22:25], v[5:6], off
	global_load_dwordx4 v[29:32], v[7:8], off
	v_lshlrev_b64 v[5:6], 4, v[26:27]
	s_movk_i32 s4, 0x25c
	v_mov_b32_e32 v7, s15
	v_add_co_u32_e64 v28, s[6:7], s14, v5
	v_cmp_lt_u32_e64 s[4:5], s4, v0
	v_addc_co_u32_e64 v7, s[6:7], v7, v6, s[6:7]
	v_cndmask_b32_e64 v8, 0, v53, s[4:5]
	s_movk_i32 s6, 0x1e4
	v_lshlrev_b64 v[5:6], 4, v[8:9]
	v_mov_b32_e32 v8, 0xfffffe1c
	v_mov_b32_e32 v26, 0x34f
	v_cmp_gt_u32_e64 s[6:7], s6, v0
	v_cndmask_b32_e64 v8, v8, v26, s[6:7]
	v_add_u32_e32 v56, v0, v8
	v_mad_u64_u32 v[26:27], s[6:7], s36, v56, 0
	v_add_co_u32_e64 v5, s[6:7], v28, v5
	v_addc_co_u32_e64 v6, s[6:7], v7, v6, s[6:7]
	v_mov_b32_e32 v7, v27
	v_mad_u64_u32 v[7:8], s[6:7], s37, v56, v[7:8]
	v_mov_b32_e32 v28, 0xfffffe95
	v_cndmask_b32_e64 v28, v28, v33, s[8:9]
	v_add_u32_e32 v57, v0, v28
	v_mad_u64_u32 v[41:42], s[8:9], s36, v57, 0
	v_mov_b32_e32 v27, v7
	v_lshlrev_b64 v[26:27], 4, v[26:27]
	v_mov_b32_e32 v7, s15
	v_add_co_u32_e64 v28, s[8:9], s14, v26
	v_mov_b32_e32 v26, v42
	v_addc_co_u32_e64 v33, s[8:9], v7, v27, s[8:9]
	v_mad_u64_u32 v[26:27], s[8:9], s37, v57, v[26:27]
	s_movk_i32 s6, 0x1e3
	v_cmp_lt_u32_e64 s[6:7], s6, v0
	v_cndmask_b32_e64 v8, 0, v53, s[6:7]
	v_lshlrev_b64 v[7:8], 4, v[8:9]
	v_mov_b32_e32 v42, v26
	v_mov_b32_e32 v26, 0xffffff0e
	v_mov_b32_e32 v27, 0x441
	v_cndmask_b32_e64 v26, v26, v27, s[10:11]
	v_add_co_u32_e64 v7, s[8:9], v28, v7
	v_add_u32_e32 v58, v0, v26
	v_addc_co_u32_e64 v8, s[8:9], v33, v8, s[8:9]
	v_mad_u64_u32 v[26:27], s[10:11], s36, v58, 0
	global_load_dwordx4 v[33:36], v[5:6], off
	global_load_dwordx4 v[37:40], v[7:8], off
	s_movk_i32 s8, 0x16a
	v_lshlrev_b64 v[5:6], 4, v[41:42]
	v_cmp_lt_u32_e64 s[8:9], s8, v0
	v_cndmask_b32_e64 v8, 0, v53, s[8:9]
	v_mov_b32_e32 v7, s15
	v_add_co_u32_e64 v28, s[10:11], s14, v5
	v_addc_co_u32_e64 v41, s[10:11], v7, v6, s[10:11]
	v_lshlrev_b64 v[5:6], 4, v[8:9]
	v_mov_b32_e32 v7, v27
	v_mad_u64_u32 v[7:8], s[10:11], s37, v58, v[7:8]
	v_add_co_u32_e64 v5, s[10:11], v28, v5
	v_addc_co_u32_e64 v6, s[10:11], v41, v6, s[10:11]
	v_mov_b32_e32 v28, 0xffffff87
	v_mov_b32_e32 v41, 0x4ba
	v_cmp_gt_u32_e64 s[12:13], s20, v0
	v_cndmask_b32_e64 v28, v28, v41, s[12:13]
	v_add_u32_e32 v59, v0, v28
	v_mad_u64_u32 v[49:50], s[12:13], s36, v59, 0
	v_mov_b32_e32 v27, v7
	v_lshlrev_b64 v[26:27], 4, v[26:27]
	s_movk_i32 s10, 0xf1
	v_cmp_lt_u32_e64 s[10:11], s10, v0
	v_mov_b32_e32 v7, s15
	v_add_co_u32_e64 v28, s[12:13], s14, v26
	v_mov_b32_e32 v26, v50
	v_cndmask_b32_e64 v8, 0, v53, s[10:11]
	v_addc_co_u32_e64 v41, s[12:13], v7, v27, s[12:13]
	v_mad_u64_u32 v[26:27], s[12:13], s37, v59, v[26:27]
	v_lshlrev_b64 v[7:8], 4, v[8:9]
	s_mov_b32 s22, 0xf8bb580b
	v_add_co_u32_e64 v7, s[12:13], v28, v7
	v_addc_co_u32_e64 v8, s[12:13], v41, v8, s[12:13]
	v_mov_b32_e32 v50, v26
	global_load_dwordx4 v[41:44], v[5:6], off
	global_load_dwordx4 v[45:48], v[7:8], off
	s_movk_i32 s12, 0x78
	v_lshlrev_b64 v[5:6], 4, v[49:50]
	v_cmp_lt_u32_e64 s[12:13], s12, v0
	v_cndmask_b32_e64 v8, 0, v53, s[12:13]
	v_mov_b32_e32 v7, s15
	v_add_co_u32_e64 v26, s[14:15], s14, v5
	v_addc_co_u32_e64 v7, s[14:15], v7, v6, s[14:15]
	v_lshlrev_b64 v[5:6], 4, v[8:9]
	v_lshl_add_u32 v28, v0, 4, 0
	v_add_co_u32_e64 v5, s[14:15], v26, v5
	v_addc_co_u32_e64 v6, s[14:15], v7, v6, s[14:15]
	global_load_dwordx4 v[5:8], v[5:6], off
	s_waitcnt vmcnt(10)
	ds_write_b128 v28, v[1:4]
	s_waitcnt vmcnt(9)
	ds_write_b128 v28, v[10:13] offset:1936
	s_waitcnt vmcnt(8)
	ds_write_b128 v28, v[14:17] offset:3872
	v_mov_b32_e32 v1, 0x5340
	v_cndmask_b32_e32 v2, 0, v1, vcc
	v_lshlrev_b32_e32 v3, 4, v51
	v_add3_u32 v2, 0, v3, v2
	s_waitcnt vmcnt(7)
	ds_write_b128 v2, v[18:21]
	v_cndmask_b32_e64 v2, 0, v1, s[0:1]
	v_lshlrev_b32_e32 v3, 4, v52
	v_add3_u32 v2, 0, v3, v2
	s_waitcnt vmcnt(6)
	ds_write_b128 v2, v[22:25]
	v_cndmask_b32_e64 v2, 0, v1, s[2:3]
	;; [unrolled: 5-line block ×5, first 2 shown]
	v_lshlrev_b32_e32 v3, 4, v57
	v_add3_u32 v2, 0, v3, v2
	v_lshlrev_b32_e32 v3, 4, v58
	s_mov_b32 s4, 0x43842ef
	s_mov_b32 s14, 0xfd768dbf
	;; [unrolled: 1-line block ×19, first 2 shown]
	s_mul_i32 s28, s28, s45
	s_mul_i32 s18, s18, s33
	s_waitcnt vmcnt(2)
	ds_write_b128 v2, v[41:44]
	v_cndmask_b32_e64 v2, 0, v1, s[10:11]
	v_add3_u32 v2, 0, v3, v2
	s_waitcnt vmcnt(1)
	ds_write_b128 v2, v[45:48]
	v_cndmask_b32_e64 v1, 0, v1, s[12:13]
	v_lshlrev_b32_e32 v2, 4, v59
	v_add3_u32 v1, 0, v2, v1
	s_mov_b32 s10, 0xbb3a28a1
	s_mov_b32 s11, 0xbfe82f19
	;; [unrolled: 1-line block ×4, first 2 shown]
	s_waitcnt vmcnt(0)
	ds_write_b128 v1, v[5:8]
	v_mul_u32_u24_e32 v1, 0x21e, v0
	v_mul_lo_u16_sdwa v1, v1, s20 dst_sel:DWORD dst_unused:UNUSED_PAD src0_sel:WORD_1 src1_sel:DWORD
	v_sub_u16_e32 v30, v0, v1
	v_lshl_add_u32 v29, v30, 4, 0
	s_waitcnt lgkmcnt(0)
	s_barrier
	ds_read_b128 v[5:8], v29
	ds_read_b128 v[10:13], v29 offset:1936
	ds_read_b128 v[14:17], v29 offset:3872
	;; [unrolled: 1-line block ×9, first 2 shown]
	s_waitcnt lgkmcnt(8)
	v_add_f64 v[1:2], v[5:6], v[10:11]
	v_add_f64 v[3:4], v[7:8], v[12:13]
	ds_read_b128 v[51:54], v29 offset:19360
	s_waitcnt lgkmcnt(2)
	v_add_f64 v[59:60], v[24:25], -v[49:50]
	v_add_f64 v[26:27], v[31:32], v[43:44]
	v_add_f64 v[61:62], v[31:32], -v[43:44]
	v_add_f64 v[63:64], v[33:34], -v[45:46]
	s_waitcnt lgkmcnt(0)
	v_add_f64 v[55:56], v[10:11], v[51:52]
	v_add_f64 v[1:2], v[1:2], v[14:15]
	;; [unrolled: 1-line block ×6, first 2 shown]
	v_add_f64 v[69:70], v[35:36], -v[39:40]
	v_add_f64 v[71:72], v[37:38], -v[41:42]
	v_mul_f64 v[91:92], v[59:60], s[4:5]
	v_add_f64 v[1:2], v[1:2], v[22:23]
	v_add_f64 v[3:4], v[3:4], v[24:25]
	v_mul_f64 v[97:98], v[63:64], s[10:11]
	s_movk_i32 s20, 0xa0
	s_barrier
	v_add_f64 v[1:2], v[1:2], v[31:32]
	v_add_f64 v[3:4], v[3:4], v[33:34]
	;; [unrolled: 1-line block ×14, first 2 shown]
	v_add_f64 v[51:52], v[10:11], -v[51:52]
	v_add_f64 v[53:54], v[12:13], -v[53:54]
	v_add_f64 v[10:11], v[16:17], v[20:21]
	v_add_f64 v[20:21], v[16:17], -v[20:21]
	v_add_f64 v[16:17], v[24:25], v[49:50]
	v_add_f64 v[24:25], v[33:34], v[45:46]
	;; [unrolled: 1-line block ×3, first 2 shown]
	v_add_f64 v[14:15], v[14:15], -v[18:19]
	v_mul_f64 v[49:50], v[51:52], s[22:23]
	v_mul_f64 v[31:32], v[53:54], s[22:23]
	;; [unrolled: 1-line block ×6, first 2 shown]
	v_add_f64 v[18:19], v[22:23], v[47:48]
	v_add_f64 v[22:23], v[22:23], -v[47:48]
	v_mul_f64 v[53:54], v[51:52], s[42:43]
	v_fma_f64 v[35:36], v[55:56], s[6:7], -v[31:32]
	v_fma_f64 v[31:32], v[55:56], s[6:7], v[31:32]
	v_fma_f64 v[37:38], v[55:56], s[2:3], -v[33:34]
	v_fma_f64 v[33:34], v[55:56], s[2:3], v[33:34]
	;; [unrolled: 2-line block ×4, first 2 shown]
	v_fma_f64 v[73:74], v[55:56], s[12:13], -v[43:44]
	v_mul_f64 v[75:76], v[51:52], s[4:5]
	v_fma_f64 v[43:44], v[55:56], s[12:13], v[43:44]
	v_mul_f64 v[55:56], v[51:52], s[10:11]
	v_mul_f64 v[51:52], v[51:52], s[14:15]
	v_fma_f64 v[77:78], v[57:58], s[6:7], v[49:50]
	v_mul_f64 v[85:86], v[20:21], s[42:43]
	v_fma_f64 v[49:50], v[57:58], s[6:7], -v[49:50]
	v_fma_f64 v[79:80], v[57:58], s[2:3], v[53:54]
	v_fma_f64 v[53:54], v[57:58], s[2:3], -v[53:54]
	v_fma_f64 v[81:82], v[57:58], s[0:1], v[75:76]
	;; [unrolled: 2-line block ×4, first 2 shown]
	v_fma_f64 v[51:52], v[57:58], s[12:13], -v[51:52]
	v_add_f64 v[35:36], v[5:6], v[35:36]
	v_add_f64 v[57:58], v[7:8], v[77:78]
	v_fma_f64 v[77:78], v[12:13], s[2:3], -v[85:86]
	v_mul_f64 v[89:90], v[14:15], s[42:43]
	v_fma_f64 v[93:94], v[18:19], s[0:1], -v[91:92]
	v_mul_f64 v[95:96], v[22:23], s[4:5]
	v_add_f64 v[99:100], v[5:6], v[39:40]
	v_add_f64 v[101:102], v[5:6], v[47:48]
	v_add_f64 v[31:32], v[5:6], v[31:32]
	v_add_f64 v[103:104], v[5:6], v[41:42]
	v_add_f64 v[35:36], v[77:78], v[35:36]
	v_fma_f64 v[77:78], v[10:11], s[2:3], v[89:90]
	v_fma_f64 v[85:86], v[12:13], s[2:3], v[85:86]
	;; [unrolled: 1-line block ×3, first 2 shown]
	v_add_f64 v[105:106], v[5:6], v[43:44]
	v_mul_f64 v[43:44], v[20:21], s[10:11]
	v_add_f64 v[49:50], v[7:8], v[49:50]
	v_add_f64 v[37:38], v[5:6], v[37:38]
	;; [unrolled: 1-line block ×4, first 2 shown]
	v_fma_f64 v[57:58], v[26:27], s[8:9], -v[97:98]
	v_mul_f64 v[77:78], v[61:62], s[10:11]
	v_mul_f64 v[93:94], v[71:72], s[14:15]
	v_add_f64 v[79:80], v[7:8], v[79:80]
	v_add_f64 v[33:34], v[5:6], v[33:34]
	;; [unrolled: 1-line block ×6, first 2 shown]
	v_fma_f64 v[41:42], v[24:25], s[8:9], v[77:78]
	v_fma_f64 v[47:48], v[65:66], s[12:13], -v[93:94]
	v_mul_f64 v[57:58], v[69:70], s[14:15]
	v_add_f64 v[81:82], v[7:8], v[81:82]
	v_add_f64 v[75:76], v[7:8], v[75:76]
	v_add_f64 v[83:84], v[7:8], v[83:84]
	v_add_f64 v[55:56], v[7:8], v[55:56]
	v_add_f64 v[73:74], v[5:6], v[73:74]
	v_add_f64 v[87:88], v[7:8], v[87:88]
	v_add_f64 v[51:52], v[7:8], v[51:52]
	v_add_f64 v[7:8], v[41:42], v[39:40]
	v_add_f64 v[5:6], v[47:48], v[35:36]
	v_fma_f64 v[35:36], v[67:68], s[12:13], v[57:58]
	v_add_f64 v[31:32], v[85:86], v[31:32]
	v_fma_f64 v[39:40], v[10:11], s[2:3], -v[89:90]
	v_fma_f64 v[41:42], v[18:19], s[0:1], v[91:92]
	v_fma_f64 v[47:48], v[12:13], s[8:9], -v[43:44]
	v_mul_f64 v[85:86], v[14:15], s[10:11]
	v_mul_f64 v[89:90], v[59:60], s[40:41]
	;; [unrolled: 1-line block ×3, first 2 shown]
	v_add_f64 v[7:8], v[35:36], v[7:8]
	v_fma_f64 v[43:44], v[12:13], s[8:9], v[43:44]
	v_add_f64 v[35:36], v[39:40], v[49:50]
	v_add_f64 v[31:32], v[41:42], v[31:32]
	v_fma_f64 v[39:40], v[16:17], s[0:1], -v[95:96]
	v_fma_f64 v[41:42], v[26:27], s[8:9], v[97:98]
	v_add_f64 v[37:38], v[47:48], v[37:38]
	v_fma_f64 v[47:48], v[10:11], s[8:9], v[85:86]
	v_fma_f64 v[49:50], v[18:19], s[12:13], -v[89:90]
	v_mul_f64 v[95:96], v[63:64], s[38:39]
	v_add_f64 v[43:44], v[43:44], v[33:34]
	v_add_f64 v[35:36], v[39:40], v[35:36]
	;; [unrolled: 1-line block ×3, first 2 shown]
	v_fma_f64 v[39:40], v[24:25], s[8:9], -v[77:78]
	v_fma_f64 v[41:42], v[65:66], s[12:13], v[93:94]
	v_add_f64 v[47:48], v[47:48], v[79:80]
	v_add_f64 v[37:38], v[49:50], v[37:38]
	v_fma_f64 v[49:50], v[16:17], s[12:13], v[91:92]
	v_fma_f64 v[77:78], v[26:27], s[0:1], -v[95:96]
	v_mul_f64 v[79:80], v[61:62], s[38:39]
	v_mul_f64 v[93:94], v[71:72], s[36:37]
	v_add_f64 v[35:36], v[39:40], v[35:36]
	v_fma_f64 v[39:40], v[67:68], s[12:13], -v[57:58]
	v_add_f64 v[31:32], v[41:42], v[31:32]
	v_mul_f64 v[57:58], v[69:70], s[36:37]
	v_add_f64 v[41:42], v[49:50], v[47:48]
	v_add_f64 v[37:38], v[77:78], v[37:38]
	v_fma_f64 v[47:48], v[24:25], s[0:1], v[79:80]
	v_fma_f64 v[77:78], v[10:11], s[8:9], -v[85:86]
	v_fma_f64 v[49:50], v[65:66], s[6:7], -v[93:94]
	v_fma_f64 v[85:86], v[18:19], s[12:13], v[89:90]
	v_add_f64 v[33:34], v[39:40], v[35:36]
	v_mul_f64 v[89:90], v[20:21], s[40:41]
	v_add_f64 v[39:40], v[47:48], v[41:42]
	v_add_f64 v[41:42], v[77:78], v[53:54]
	v_fma_f64 v[47:48], v[16:17], s[12:13], -v[91:92]
	v_add_f64 v[35:36], v[49:50], v[37:38]
	v_fma_f64 v[37:38], v[67:68], s[6:7], v[57:58]
	v_add_f64 v[43:44], v[85:86], v[43:44]
	v_fma_f64 v[49:50], v[26:27], s[0:1], v[95:96]
	v_fma_f64 v[53:54], v[12:13], s[12:13], -v[89:90]
	v_mul_f64 v[77:78], v[14:15], s[40:41]
	v_mul_f64 v[85:86], v[59:60], s[24:25]
	v_add_f64 v[41:42], v[47:48], v[41:42]
	v_fma_f64 v[47:48], v[24:25], s[0:1], -v[79:80]
	v_add_f64 v[37:38], v[37:38], v[39:40]
	v_mul_f64 v[79:80], v[22:23], s[24:25]
	v_add_f64 v[39:40], v[49:50], v[43:44]
	v_fma_f64 v[43:44], v[65:66], s[6:7], v[93:94]
	v_fma_f64 v[49:50], v[10:11], s[12:13], v[77:78]
	v_add_f64 v[45:46], v[53:54], v[45:46]
	v_fma_f64 v[53:54], v[18:19], s[2:3], -v[85:86]
	v_add_f64 v[41:42], v[47:48], v[41:42]
	v_mul_f64 v[47:48], v[63:64], s[22:23]
	v_fma_f64 v[57:58], v[67:68], s[6:7], -v[57:58]
	v_mul_f64 v[91:92], v[71:72], s[10:11]
	v_add_f64 v[39:40], v[43:44], v[39:40]
	v_add_f64 v[43:44], v[49:50], v[81:82]
	v_fma_f64 v[49:50], v[12:13], s[12:13], v[89:90]
	v_add_f64 v[45:46], v[53:54], v[45:46]
	v_fma_f64 v[53:54], v[16:17], s[2:3], v[79:80]
	v_mul_f64 v[81:82], v[61:62], s[22:23]
	v_fma_f64 v[89:90], v[26:27], s[6:7], -v[47:48]
	v_add_f64 v[41:42], v[57:58], v[41:42]
	v_fma_f64 v[57:58], v[10:11], s[12:13], -v[77:78]
	v_fma_f64 v[77:78], v[18:19], s[2:3], v[85:86]
	v_add_f64 v[49:50], v[49:50], v[99:100]
	v_fma_f64 v[85:86], v[65:66], s[8:9], -v[91:92]
	v_add_f64 v[43:44], v[53:54], v[43:44]
	v_fma_f64 v[53:54], v[24:25], s[6:7], v[81:82]
	v_add_f64 v[45:46], v[89:90], v[45:46]
	v_mul_f64 v[89:90], v[69:70], s[10:11]
	v_add_f64 v[57:58], v[57:58], v[75:76]
	v_fma_f64 v[75:76], v[16:17], s[2:3], -v[79:80]
	v_add_f64 v[49:50], v[77:78], v[49:50]
	v_fma_f64 v[47:48], v[26:27], s[6:7], v[47:48]
	v_mul_f64 v[77:78], v[20:21], s[38:39]
	v_add_f64 v[53:54], v[53:54], v[43:44]
	v_add_f64 v[43:44], v[85:86], v[45:46]
	v_mul_f64 v[79:80], v[14:15], s[38:39]
	v_fma_f64 v[45:46], v[67:68], s[8:9], v[89:90]
	v_add_f64 v[57:58], v[75:76], v[57:58]
	v_fma_f64 v[75:76], v[24:25], s[6:7], -v[81:82]
	v_add_f64 v[47:48], v[47:48], v[49:50]
	v_fma_f64 v[49:50], v[65:66], s[8:9], v[91:92]
	v_fma_f64 v[81:82], v[12:13], s[0:1], -v[77:78]
	v_mul_f64 v[85:86], v[59:60], s[22:23]
	v_fma_f64 v[91:92], v[10:11], s[0:1], v[79:80]
	v_mul_f64 v[93:94], v[22:23], s[22:23]
	v_add_f64 v[45:46], v[45:46], v[53:54]
	v_add_f64 v[53:54], v[75:76], v[57:58]
	v_fma_f64 v[57:58], v[67:68], s[8:9], -v[89:90]
	v_add_f64 v[47:48], v[49:50], v[47:48]
	v_add_f64 v[75:76], v[81:82], v[101:102]
	v_fma_f64 v[81:82], v[18:19], s[6:7], -v[85:86]
	v_add_f64 v[83:84], v[91:92], v[83:84]
	v_fma_f64 v[89:90], v[16:17], s[6:7], v[93:94]
	v_mul_f64 v[91:92], v[63:64], s[14:15]
	v_fma_f64 v[77:78], v[12:13], s[0:1], v[77:78]
	v_add_f64 v[49:50], v[57:58], v[53:54]
	v_fma_f64 v[53:54], v[10:11], s[0:1], -v[79:80]
	v_mul_f64 v[20:21], v[20:21], s[36:37]
	v_mul_f64 v[95:96], v[61:62], s[14:15]
	v_add_f64 v[57:58], v[81:82], v[75:76]
	v_add_f64 v[75:76], v[89:90], v[83:84]
	v_fma_f64 v[79:80], v[26:27], s[12:13], -v[91:92]
	v_add_f64 v[77:78], v[77:78], v[103:104]
	v_fma_f64 v[83:84], v[18:19], s[6:7], v[85:86]
	v_add_f64 v[53:54], v[53:54], v[55:56]
	v_fma_f64 v[55:56], v[16:17], s[6:7], -v[93:94]
	v_fma_f64 v[85:86], v[12:13], s[6:7], -v[20:21]
	v_mul_f64 v[14:15], v[14:15], s[36:37]
	v_fma_f64 v[81:82], v[24:25], s[12:13], v[95:96]
	v_mul_f64 v[59:60], v[59:60], s[10:11]
	v_fma_f64 v[12:13], v[12:13], s[6:7], v[20:21]
	v_add_f64 v[57:58], v[79:80], v[57:58]
	v_add_f64 v[77:78], v[83:84], v[77:78]
	v_fma_f64 v[79:80], v[26:27], s[12:13], v[91:92]
	v_add_f64 v[53:54], v[55:56], v[53:54]
	v_add_f64 v[55:56], v[85:86], v[73:74]
	v_fma_f64 v[73:74], v[10:11], s[6:7], v[14:15]
	v_mul_f64 v[22:23], v[22:23], s[10:11]
	v_fma_f64 v[10:11], v[10:11], s[6:7], -v[14:15]
	v_add_f64 v[75:76], v[81:82], v[75:76]
	v_fma_f64 v[81:82], v[18:19], s[8:9], -v[59:60]
	v_fma_f64 v[14:15], v[24:25], s[12:13], -v[95:96]
	v_add_f64 v[12:13], v[12:13], v[105:106]
	v_fma_f64 v[18:19], v[18:19], s[8:9], v[59:60]
	v_mul_f64 v[20:21], v[63:64], s[24:25]
	v_add_f64 v[63:64], v[79:80], v[77:78]
	v_add_f64 v[73:74], v[73:74], v[87:88]
	v_fma_f64 v[77:78], v[16:17], s[8:9], v[22:23]
	v_add_f64 v[10:11], v[10:11], v[51:52]
	v_fma_f64 v[16:17], v[16:17], s[8:9], -v[22:23]
	v_mul_f64 v[22:23], v[61:62], s[24:25]
	v_add_f64 v[51:52], v[14:15], v[53:54]
	v_mul_f64 v[53:54], v[71:72], s[24:25]
	v_add_f64 v[12:13], v[18:19], v[12:13]
	;; [unrolled: 2-line block ×3, first 2 shown]
	v_fma_f64 v[79:80], v[26:27], s[2:3], -v[20:21]
	v_add_f64 v[14:15], v[77:78], v[73:74]
	v_add_f64 v[10:11], v[16:17], v[10:11]
	v_fma_f64 v[16:17], v[24:25], s[2:3], v[22:23]
	v_mul_f64 v[59:60], v[71:72], s[4:5]
	v_fma_f64 v[20:21], v[26:27], s[2:3], v[20:21]
	v_mul_f64 v[61:62], v[69:70], s[4:5]
	v_fma_f64 v[22:23], v[24:25], s[2:3], -v[22:23]
	v_fma_f64 v[26:27], v[65:66], s[2:3], -v[53:54]
	v_fma_f64 v[24:25], v[67:68], s[2:3], v[18:19]
	v_add_f64 v[55:56], v[79:80], v[55:56]
	v_fma_f64 v[18:19], v[67:68], s[2:3], -v[18:19]
	v_add_f64 v[69:70], v[16:17], v[14:15]
	v_fma_f64 v[71:72], v[65:66], s[0:1], -v[59:60]
	v_add_f64 v[73:74], v[20:21], v[12:13]
	v_fma_f64 v[20:21], v[67:68], s[0:1], v[61:62]
	v_add_f64 v[77:78], v[22:23], v[10:11]
	v_fma_f64 v[22:23], v[65:66], s[0:1], v[59:60]
	v_fma_f64 v[59:60], v[67:68], s[0:1], -v[61:62]
	v_fma_f64 v[53:54], v[65:66], s[2:3], v[53:54]
	v_add_f64 v[10:11], v[26:27], v[57:58]
	v_add_f64 v[12:13], v[24:25], v[75:76]
	;; [unrolled: 1-line block ×8, first 2 shown]
	v_mad_u32_u24 v26, v30, s20, v29
	ds_write_b128 v26, v[1:4]
	ds_write_b128 v26, v[5:8] offset:16
	ds_write_b128 v26, v[35:38] offset:32
	;; [unrolled: 1-line block ×10, first 2 shown]
	v_mul_lo_u16_e32 v1, 0xbb, v30
	v_lshrrev_b16_e32 v5, 11, v1
	v_mul_lo_u16_e32 v1, 11, v5
	v_sub_u16_e32 v6, v30, v1
	v_mov_b32_e32 v1, 10
	v_mul_u32_u24_sdwa v1, v6, v1 dst_sel:DWORD dst_unused:UNUSED_PAD src0_sel:BYTE_0 src1_sel:DWORD
	v_lshlrev_b32_e32 v7, 4, v1
	s_waitcnt lgkmcnt(0)
	s_barrier
	global_load_dwordx4 v[1:4], v7, s[16:17]
	global_load_dwordx4 v[10:13], v7, s[16:17] offset:16
	global_load_dwordx4 v[14:17], v7, s[16:17] offset:32
	;; [unrolled: 1-line block ×9, first 2 shown]
	ds_read_b128 v[51:54], v29 offset:1936
	ds_read_b128 v[55:58], v29
	ds_read_b128 v[59:62], v29 offset:3872
	ds_read_b128 v[63:66], v29 offset:5808
	v_mul_u32_u24_e32 v5, 0x790, v5
	s_waitcnt vmcnt(9) lgkmcnt(3)
	v_mul_f64 v[7:8], v[53:54], v[3:4]
	v_mul_f64 v[3:4], v[51:52], v[3:4]
	s_waitcnt vmcnt(8) lgkmcnt(1)
	v_mul_f64 v[26:27], v[61:62], v[12:13]
	v_mul_f64 v[12:13], v[59:60], v[12:13]
	v_fma_f64 v[7:8], v[51:52], v[1:2], -v[7:8]
	v_fma_f64 v[51:52], v[53:54], v[1:2], v[3:4]
	ds_read_b128 v[1:4], v29 offset:7744
	v_fma_f64 v[26:27], v[59:60], v[10:11], -v[26:27]
	v_fma_f64 v[53:54], v[61:62], v[10:11], v[12:13]
	s_waitcnt vmcnt(7) lgkmcnt(1)
	v_mul_f64 v[59:60], v[65:66], v[16:17]
	v_mul_f64 v[16:17], v[63:64], v[16:17]
	s_waitcnt vmcnt(6) lgkmcnt(0)
	v_mul_f64 v[69:70], v[3:4], v[20:21]
	v_add_f64 v[61:62], v[55:56], v[7:8]
	v_add_f64 v[67:68], v[57:58], v[51:52]
	v_mul_f64 v[20:21], v[1:2], v[20:21]
	ds_read_b128 v[10:13], v29 offset:9680
	v_fma_f64 v[59:60], v[63:64], v[14:15], -v[59:60]
	v_fma_f64 v[63:64], v[65:66], v[14:15], v[16:17]
	v_fma_f64 v[65:66], v[1:2], v[18:19], -v[69:70]
	v_add_f64 v[61:62], v[61:62], v[26:27]
	v_add_f64 v[14:15], v[67:68], v[53:54]
	v_fma_f64 v[18:19], v[3:4], v[18:19], v[20:21]
	ds_read_b128 v[1:4], v29 offset:11616
	s_waitcnt vmcnt(5) lgkmcnt(1)
	v_mul_f64 v[20:21], v[12:13], v[24:25]
	v_mul_f64 v[24:25], v[10:11], v[24:25]
	v_add_f64 v[61:62], v[61:62], v[59:60]
	v_add_f64 v[67:68], v[14:15], v[63:64]
	s_waitcnt vmcnt(4) lgkmcnt(0)
	v_mul_f64 v[69:70], v[3:4], v[33:34]
	v_mul_f64 v[33:34], v[1:2], v[33:34]
	v_fma_f64 v[20:21], v[10:11], v[22:23], -v[20:21]
	v_fma_f64 v[22:23], v[12:13], v[22:23], v[24:25]
	ds_read_b128 v[14:17], v29 offset:13552
	v_add_f64 v[10:11], v[61:62], v[65:66]
	v_add_f64 v[12:13], v[67:68], v[18:19]
	v_fma_f64 v[24:25], v[1:2], v[31:32], -v[69:70]
	v_fma_f64 v[31:32], v[3:4], v[31:32], v[33:34]
	ds_read_b128 v[1:4], v29 offset:15488
	s_waitcnt vmcnt(3) lgkmcnt(1)
	v_mul_f64 v[33:34], v[16:17], v[37:38]
	v_mul_f64 v[37:38], v[14:15], v[37:38]
	v_add_f64 v[61:62], v[10:11], v[20:21]
	v_add_f64 v[67:68], v[12:13], v[22:23]
	s_waitcnt vmcnt(2) lgkmcnt(0)
	v_mul_f64 v[69:70], v[3:4], v[41:42]
	ds_read_b128 v[10:13], v29 offset:17424
	v_mul_f64 v[41:42], v[1:2], v[41:42]
	v_fma_f64 v[33:34], v[14:15], v[35:36], -v[33:34]
	v_fma_f64 v[35:36], v[16:17], v[35:36], v[37:38]
	ds_read_b128 v[14:17], v29 offset:19360
	v_add_f64 v[61:62], v[61:62], v[24:25]
	v_add_f64 v[37:38], v[67:68], v[31:32]
	v_fma_f64 v[67:68], v[1:2], v[39:40], -v[69:70]
	s_waitcnt vmcnt(1) lgkmcnt(1)
	v_mul_f64 v[1:2], v[12:13], v[45:46]
	v_fma_f64 v[39:40], v[3:4], v[39:40], v[41:42]
	v_mul_f64 v[41:42], v[10:11], v[45:46]
	s_waitcnt vmcnt(0) lgkmcnt(0)
	v_mul_f64 v[45:46], v[14:15], v[49:50]
	v_add_f64 v[101:102], v[65:66], v[33:34]
	v_add_f64 v[3:4], v[61:62], v[33:34]
	;; [unrolled: 1-line block ×4, first 2 shown]
	v_fma_f64 v[10:11], v[10:11], v[43:44], -v[1:2]
	v_mul_f64 v[1:2], v[16:17], v[49:50]
	v_fma_f64 v[12:13], v[12:13], v[43:44], v[41:42]
	v_fma_f64 v[16:17], v[16:17], v[47:48], v[45:46]
	v_add_f64 v[93:94], v[63:64], -v[39:40]
	v_add_f64 v[3:4], v[3:4], v[67:68]
	v_add_f64 v[37:38], v[37:38], v[39:40]
	v_add_f64 v[59:60], v[59:60], -v[67:68]
	v_add_f64 v[89:90], v[26:27], v[10:11]
	v_fma_f64 v[14:15], v[14:15], v[47:48], -v[1:2]
	v_add_f64 v[26:27], v[26:27], -v[10:11]
	v_add_f64 v[41:42], v[51:52], -v[16:17]
	v_add_f64 v[39:40], v[63:64], v[39:40]
	v_add_f64 v[1:2], v[3:4], v[10:11]
	;; [unrolled: 1-line block ×3, first 2 shown]
	v_mul_f64 v[99:100], v[59:60], s[4:5]
	v_add_f64 v[65:66], v[65:66], -v[33:34]
	v_add_f64 v[37:38], v[7:8], v[14:15]
	v_add_f64 v[7:8], v[7:8], -v[14:15]
	v_mul_f64 v[43:44], v[41:42], s[22:23]
	v_mul_f64 v[45:46], v[41:42], s[42:43]
	v_add_f64 v[1:2], v[1:2], v[14:15]
	v_add_f64 v[3:4], v[3:4], v[16:17]
	;; [unrolled: 1-line block ×3, first 2 shown]
	v_mul_f64 v[47:48], v[41:42], s[4:5]
	v_mul_f64 v[14:15], v[41:42], s[10:11]
	v_mul_f64 v[41:42], v[41:42], s[14:15]
	v_mul_f64 v[71:72], v[7:8], s[22:23]
	v_fma_f64 v[49:50], v[37:38], s[6:7], -v[43:44]
	v_fma_f64 v[43:44], v[37:38], s[6:7], v[43:44]
	v_fma_f64 v[51:52], v[37:38], s[2:3], -v[45:46]
	v_fma_f64 v[45:46], v[37:38], s[2:3], v[45:46]
	;; [unrolled: 2-line block ×4, first 2 shown]
	v_mul_f64 v[73:74], v[7:8], s[42:43]
	v_fma_f64 v[75:76], v[37:38], s[12:13], -v[41:42]
	v_mul_f64 v[77:78], v[7:8], s[4:5]
	v_fma_f64 v[37:38], v[37:38], s[12:13], v[41:42]
	v_mul_f64 v[41:42], v[7:8], s[10:11]
	v_mul_f64 v[7:8], v[7:8], s[14:15]
	v_fma_f64 v[79:80], v[16:17], s[6:7], v[71:72]
	v_fma_f64 v[71:72], v[16:17], s[6:7], -v[71:72]
	v_fma_f64 v[81:82], v[16:17], s[2:3], v[73:74]
	v_fma_f64 v[73:74], v[16:17], s[2:3], -v[73:74]
	;; [unrolled: 2-line block ×5, first 2 shown]
	v_add_f64 v[16:17], v[55:56], v[49:50]
	v_add_f64 v[49:50], v[57:58], v[79:80]
	v_add_f64 v[79:80], v[53:54], -v[12:13]
	v_add_f64 v[53:54], v[53:54], v[12:13]
	v_mul_f64 v[12:13], v[26:27], s[42:43]
	v_add_f64 v[95:96], v[55:56], v[14:15]
	v_mul_f64 v[14:15], v[93:94], s[4:5]
	v_add_f64 v[67:68], v[55:56], v[75:76]
	v_add_f64 v[75:76], v[18:19], -v[35:36]
	v_add_f64 v[103:104], v[18:19], v[35:36]
	v_mul_f64 v[91:92], v[79:80], s[42:43]
	v_mul_f64 v[18:19], v[65:66], s[10:11]
	v_add_f64 v[105:106], v[20:21], -v[24:25]
	v_add_f64 v[107:108], v[20:21], v[24:25]
	v_fma_f64 v[63:64], v[97:98], s[0:1], -v[14:15]
	v_add_f64 v[43:44], v[55:56], v[43:44]
	v_mul_f64 v[33:34], v[75:76], s[10:11]
	v_add_f64 v[71:72], v[57:58], v[71:72]
	v_fma_f64 v[10:11], v[89:90], s[2:3], -v[91:92]
	v_add_f64 v[51:52], v[55:56], v[51:52]
	v_add_f64 v[45:46], v[55:56], v[45:46]
	;; [unrolled: 1-line block ×5, first 2 shown]
	v_fma_f64 v[35:36], v[101:102], s[8:9], -v[33:34]
	v_add_f64 v[55:56], v[55:56], v[37:38]
	v_add_f64 v[10:11], v[10:11], v[16:17]
	v_fma_f64 v[16:17], v[53:54], s[2:3], v[12:13]
	v_fma_f64 v[24:25], v[89:90], s[2:3], v[91:92]
	v_fma_f64 v[37:38], v[103:104], s[8:9], v[18:19]
	v_fma_f64 v[12:13], v[53:54], s[2:3], -v[12:13]
	v_add_f64 v[81:82], v[57:58], v[81:82]
	v_add_f64 v[73:74], v[57:58], v[73:74]
	;; [unrolled: 1-line block ×5, first 2 shown]
	v_add_f64 v[49:50], v[22:23], -v[31:32]
	v_fma_f64 v[63:64], v[39:40], s[0:1], v[99:100]
	v_add_f64 v[77:78], v[57:58], v[77:78]
	v_add_f64 v[85:86], v[57:58], v[85:86]
	;; [unrolled: 1-line block ×6, first 2 shown]
	v_mul_f64 v[20:21], v[49:50], s[14:15]
	v_add_f64 v[16:17], v[63:64], v[16:17]
	v_add_f64 v[63:64], v[22:23], v[31:32]
	v_mul_f64 v[22:23], v[105:106], s[14:15]
	v_add_f64 v[24:25], v[24:25], v[43:44]
	v_fma_f64 v[14:15], v[97:98], s[0:1], v[14:15]
	v_add_f64 v[43:44], v[12:13], v[71:72]
	v_fma_f64 v[57:58], v[39:40], s[0:1], -v[99:100]
	v_fma_f64 v[31:32], v[107:108], s[12:13], -v[20:21]
	v_add_f64 v[16:17], v[37:38], v[16:17]
	v_mul_f64 v[37:38], v[79:80], s[10:11]
	v_fma_f64 v[35:36], v[63:64], s[12:13], v[22:23]
	v_mul_f64 v[71:72], v[59:60], s[40:41]
	v_add_f64 v[14:15], v[14:15], v[24:25]
	v_fma_f64 v[24:25], v[101:102], s[8:9], v[33:34]
	v_mul_f64 v[33:34], v[93:94], s[40:41]
	v_add_f64 v[10:11], v[31:32], v[10:11]
	v_mul_f64 v[31:32], v[26:27], s[10:11]
	v_add_f64 v[43:44], v[57:58], v[43:44]
	v_add_f64 v[12:13], v[35:36], v[16:17]
	v_fma_f64 v[16:17], v[89:90], s[8:9], -v[37:38]
	v_fma_f64 v[18:19], v[103:104], s[8:9], -v[18:19]
	v_add_f64 v[14:15], v[24:25], v[14:15]
	v_fma_f64 v[20:21], v[107:108], s[12:13], v[20:21]
	v_fma_f64 v[24:25], v[97:98], s[12:13], -v[33:34]
	v_fma_f64 v[35:36], v[53:54], s[8:9], v[31:32]
	v_mul_f64 v[57:58], v[75:76], s[38:39]
	v_fma_f64 v[22:23], v[63:64], s[12:13], -v[22:23]
	v_add_f64 v[16:17], v[16:17], v[51:52]
	v_fma_f64 v[51:52], v[39:40], s[12:13], v[71:72]
	v_add_f64 v[18:19], v[18:19], v[43:44]
	v_mul_f64 v[43:44], v[65:66], s[38:39]
	v_add_f64 v[14:15], v[20:21], v[14:15]
	v_add_f64 v[35:36], v[35:36], v[81:82]
	v_fma_f64 v[71:72], v[39:40], s[12:13], -v[71:72]
	v_add_f64 v[20:21], v[24:25], v[16:17]
	v_fma_f64 v[24:25], v[89:90], s[8:9], v[37:38]
	v_fma_f64 v[37:38], v[101:102], s[0:1], -v[57:58]
	v_add_f64 v[16:17], v[22:23], v[18:19]
	v_fma_f64 v[18:19], v[53:54], s[8:9], -v[31:32]
	v_add_f64 v[35:36], v[51:52], v[35:36]
	v_mul_f64 v[51:52], v[49:50], s[36:37]
	v_fma_f64 v[81:82], v[103:104], s[0:1], v[43:44]
	v_mul_f64 v[22:23], v[105:106], s[36:37]
	v_add_f64 v[24:25], v[24:25], v[45:46]
	v_fma_f64 v[31:32], v[97:98], s[12:13], v[33:34]
	v_add_f64 v[20:21], v[37:38], v[20:21]
	v_mul_f64 v[37:38], v[79:80], s[40:41]
	v_add_f64 v[45:46], v[18:19], v[73:74]
	v_fma_f64 v[33:34], v[107:108], s[6:7], -v[51:52]
	v_add_f64 v[35:36], v[81:82], v[35:36]
	v_fma_f64 v[73:74], v[63:64], s[6:7], v[22:23]
	v_mul_f64 v[81:82], v[93:94], s[24:25]
	v_add_f64 v[24:25], v[31:32], v[24:25]
	v_fma_f64 v[31:32], v[101:102], s[0:1], v[57:58]
	v_fma_f64 v[57:58], v[89:90], s[12:13], -v[37:38]
	v_add_f64 v[45:46], v[71:72], v[45:46]
	v_add_f64 v[18:19], v[33:34], v[20:21]
	v_mul_f64 v[33:34], v[26:27], s[40:41]
	v_fma_f64 v[43:44], v[103:104], s[0:1], -v[43:44]
	v_add_f64 v[20:21], v[73:74], v[35:36]
	v_fma_f64 v[71:72], v[63:64], s[6:7], -v[22:23]
	v_add_f64 v[24:25], v[31:32], v[24:25]
	v_fma_f64 v[31:32], v[107:108], s[6:7], v[51:52]
	v_add_f64 v[51:52], v[57:58], v[61:62]
	v_fma_f64 v[57:58], v[97:98], s[2:3], -v[81:82]
	v_fma_f64 v[35:36], v[53:54], s[12:13], v[33:34]
	v_mul_f64 v[61:62], v[59:60], s[24:25]
	v_add_f64 v[43:44], v[43:44], v[45:46]
	v_mul_f64 v[45:46], v[75:76], s[22:23]
	v_fma_f64 v[33:34], v[53:54], s[12:13], -v[33:34]
	v_add_f64 v[22:23], v[31:32], v[24:25]
	s_barrier
	v_add_f64 v[31:32], v[35:36], v[83:84]
	v_fma_f64 v[35:36], v[89:90], s[12:13], v[37:38]
	v_add_f64 v[37:38], v[57:58], v[51:52]
	v_fma_f64 v[51:52], v[39:40], s[2:3], v[61:62]
	v_mul_f64 v[57:58], v[65:66], s[22:23]
	v_fma_f64 v[73:74], v[101:102], s[6:7], -v[45:46]
	v_mul_f64 v[83:84], v[49:50], s[10:11]
	v_add_f64 v[24:25], v[71:72], v[43:44]
	v_fma_f64 v[43:44], v[97:98], s[2:3], v[81:82]
	v_add_f64 v[35:36], v[35:36], v[47:48]
	v_mul_f64 v[71:72], v[105:106], s[10:11]
	v_add_f64 v[31:32], v[51:52], v[31:32]
	v_fma_f64 v[47:48], v[103:104], s[6:7], v[57:58]
	v_add_f64 v[37:38], v[73:74], v[37:38]
	v_fma_f64 v[51:52], v[107:108], s[8:9], -v[83:84]
	v_add_f64 v[33:34], v[33:34], v[77:78]
	v_fma_f64 v[61:62], v[39:40], s[2:3], -v[61:62]
	v_add_f64 v[35:36], v[43:44], v[35:36]
	v_fma_f64 v[43:44], v[101:102], s[6:7], v[45:46]
	v_fma_f64 v[57:58], v[103:104], s[6:7], -v[57:58]
	v_add_f64 v[45:46], v[47:48], v[31:32]
	v_mul_f64 v[47:48], v[79:80], s[38:39]
	v_add_f64 v[31:32], v[51:52], v[37:38]
	v_mul_f64 v[51:52], v[26:27], s[38:39]
	v_fma_f64 v[37:38], v[63:64], s[8:9], v[71:72]
	v_add_f64 v[61:62], v[61:62], v[33:34]
	v_add_f64 v[35:36], v[43:44], v[35:36]
	v_fma_f64 v[43:44], v[107:108], s[8:9], v[83:84]
	v_mul_f64 v[77:78], v[93:94], s[22:23]
	v_fma_f64 v[73:74], v[89:90], s[0:1], -v[47:48]
	v_mul_f64 v[83:84], v[59:60], s[22:23]
	v_fma_f64 v[81:82], v[53:54], s[0:1], v[51:52]
	v_add_f64 v[33:34], v[37:38], v[45:46]
	v_add_f64 v[37:38], v[57:58], v[61:62]
	v_fma_f64 v[45:46], v[63:64], s[8:9], -v[71:72]
	v_add_f64 v[35:36], v[43:44], v[35:36]
	v_fma_f64 v[57:58], v[97:98], s[6:7], -v[77:78]
	v_add_f64 v[43:44], v[73:74], v[69:70]
	v_fma_f64 v[69:70], v[39:40], s[6:7], v[83:84]
	v_add_f64 v[61:62], v[81:82], v[85:86]
	v_mul_f64 v[71:72], v[75:76], s[14:15]
	v_mul_f64 v[73:74], v[65:66], s[14:15]
	v_fma_f64 v[47:48], v[89:90], s[0:1], v[47:48]
	v_add_f64 v[37:38], v[45:46], v[37:38]
	v_fma_f64 v[45:46], v[53:54], s[0:1], -v[51:52]
	v_mul_f64 v[51:52], v[79:80], s[36:37]
	v_add_f64 v[43:44], v[57:58], v[43:44]
	v_add_f64 v[57:58], v[69:70], v[61:62]
	v_fma_f64 v[61:62], v[101:102], s[12:13], -v[71:72]
	v_fma_f64 v[69:70], v[103:104], s[12:13], v[73:74]
	v_add_f64 v[47:48], v[47:48], v[95:96]
	v_fma_f64 v[77:78], v[97:98], s[6:7], v[77:78]
	v_add_f64 v[41:42], v[45:46], v[41:42]
	v_fma_f64 v[45:46], v[39:40], s[6:7], -v[83:84]
	v_fma_f64 v[79:80], v[89:90], s[6:7], -v[51:52]
	v_mul_f64 v[26:27], v[26:27], s[36:37]
	v_mul_f64 v[81:82], v[93:94], s[10:11]
	v_add_f64 v[43:44], v[61:62], v[43:44]
	v_add_f64 v[57:58], v[69:70], v[57:58]
	;; [unrolled: 1-line block ×3, first 2 shown]
	v_fma_f64 v[61:62], v[101:102], s[12:13], v[71:72]
	v_add_f64 v[41:42], v[45:46], v[41:42]
	v_add_f64 v[45:46], v[79:80], v[67:68]
	v_fma_f64 v[67:68], v[53:54], s[6:7], v[26:27]
	v_fma_f64 v[69:70], v[97:98], s[8:9], -v[81:82]
	v_mul_f64 v[59:60], v[59:60], s[10:11]
	v_mul_f64 v[71:72], v[75:76], s[24:25]
	v_fma_f64 v[51:52], v[89:90], s[6:7], v[51:52]
	v_fma_f64 v[26:27], v[53:54], s[6:7], -v[26:27]
	v_add_f64 v[47:48], v[61:62], v[47:48]
	v_fma_f64 v[61:62], v[103:104], s[12:13], -v[73:74]
	v_add_f64 v[53:54], v[67:68], v[87:88]
	v_add_f64 v[45:46], v[69:70], v[45:46]
	v_fma_f64 v[67:68], v[39:40], s[8:9], v[59:60]
	v_fma_f64 v[69:70], v[101:102], s[2:3], -v[71:72]
	v_add_f64 v[51:52], v[51:52], v[55:56]
	v_fma_f64 v[55:56], v[97:98], s[8:9], v[81:82]
	v_mul_f64 v[65:66], v[65:66], s[24:25]
	v_add_f64 v[7:8], v[26:27], v[7:8]
	v_fma_f64 v[26:27], v[39:40], s[8:9], -v[59:60]
	v_add_f64 v[59:60], v[61:62], v[41:42]
	v_add_f64 v[39:40], v[67:68], v[53:54]
	;; [unrolled: 1-line block ×3, first 2 shown]
	v_mul_f64 v[41:42], v[49:50], s[24:25]
	v_add_f64 v[45:46], v[55:56], v[51:52]
	v_mul_f64 v[55:56], v[105:106], s[24:25]
	v_fma_f64 v[51:52], v[103:104], s[2:3], v[65:66]
	v_add_f64 v[7:8], v[26:27], v[7:8]
	v_mul_f64 v[49:50], v[49:50], s[4:5]
	v_fma_f64 v[61:62], v[103:104], s[2:3], -v[65:66]
	v_mul_f64 v[67:68], v[105:106], s[4:5]
	v_fma_f64 v[26:27], v[101:102], s[2:3], v[71:72]
	v_fma_f64 v[65:66], v[107:108], s[2:3], -v[41:42]
	v_fma_f64 v[69:70], v[63:64], s[2:3], v[55:56]
	v_add_f64 v[51:52], v[51:52], v[39:40]
	v_fma_f64 v[71:72], v[107:108], s[2:3], v[41:42]
	v_fma_f64 v[55:56], v[63:64], s[2:3], -v[55:56]
	v_fma_f64 v[73:74], v[107:108], s[0:1], -v[49:50]
	v_add_f64 v[7:8], v[61:62], v[7:8]
	v_fma_f64 v[61:62], v[63:64], s[0:1], v[67:68]
	v_fma_f64 v[63:64], v[63:64], s[0:1], -v[67:68]
	v_add_f64 v[26:27], v[26:27], v[45:46]
	v_fma_f64 v[75:76], v[107:108], s[0:1], v[49:50]
	v_add_f64 v[39:40], v[65:66], v[43:44]
	v_add_f64 v[41:42], v[69:70], v[57:58]
	;; [unrolled: 1-line block ×6, first 2 shown]
	v_mov_b32_e32 v7, 4
	v_add_f64 v[51:52], v[75:76], v[26:27]
	v_lshlrev_b32_sdwa v6, v7, v6 dst_sel:DWORD dst_unused:UNUSED_PAD src0_sel:DWORD src1_sel:BYTE_0
	v_add_f64 v[45:46], v[55:56], v[59:60]
	v_add3_u32 v5, 0, v5, v6
	ds_write_b128 v5, v[1:4]
	ds_write_b128 v5, v[10:13] offset:176
	ds_write_b128 v5, v[18:21] offset:352
	ds_write_b128 v5, v[31:34] offset:528
	ds_write_b128 v5, v[39:42] offset:704
	ds_write_b128 v5, v[47:50] offset:880
	ds_write_b128 v5, v[51:54] offset:1056
	ds_write_b128 v5, v[43:46] offset:1232
	ds_write_b128 v5, v[35:38] offset:1408
	ds_write_b128 v5, v[22:25] offset:1584
	ds_write_b128 v5, v[14:17] offset:1760
	v_mul_u32_u24_e32 v1, 10, v30
	v_lshlrev_b32_e32 v26, 4, v1
	s_waitcnt lgkmcnt(0)
	s_barrier
	global_load_dwordx4 v[1:4], v26, s[16:17] offset:1760
	global_load_dwordx4 v[5:8], v26, s[16:17] offset:1776
	;; [unrolled: 1-line block ×10, first 2 shown]
	ds_read_b128 v[46:49], v29 offset:1936
	ds_read_b128 v[50:53], v29
	ds_read_b128 v[54:57], v29 offset:3872
	ds_read_b128 v[58:61], v29 offset:5808
	s_waitcnt vmcnt(9) lgkmcnt(3)
	v_mul_f64 v[26:27], v[48:49], v[3:4]
	v_mul_f64 v[3:4], v[46:47], v[3:4]
	s_waitcnt vmcnt(8) lgkmcnt(1)
	v_mul_f64 v[62:63], v[56:57], v[7:8]
	v_mul_f64 v[7:8], v[54:55], v[7:8]
	v_fma_f64 v[26:27], v[46:47], v[1:2], -v[26:27]
	v_fma_f64 v[46:47], v[48:49], v[1:2], v[3:4]
	v_fma_f64 v[48:49], v[54:55], v[5:6], -v[62:63]
	s_waitcnt vmcnt(7) lgkmcnt(0)
	v_mul_f64 v[54:55], v[60:61], v[12:13]
	ds_read_b128 v[1:4], v29 offset:7744
	v_fma_f64 v[56:57], v[56:57], v[5:6], v[7:8]
	ds_read_b128 v[5:8], v29 offset:9680
	v_mul_f64 v[12:13], v[58:59], v[12:13]
	v_add_f64 v[62:63], v[50:51], v[26:27]
	v_add_f64 v[64:65], v[52:53], v[46:47]
	s_waitcnt vmcnt(6) lgkmcnt(1)
	v_mul_f64 v[66:67], v[3:4], v[16:17]
	v_fma_f64 v[54:55], v[58:59], v[10:11], -v[54:55]
	v_mul_f64 v[16:17], v[1:2], v[16:17]
	v_fma_f64 v[60:61], v[60:61], v[10:11], v[12:13]
	v_add_f64 v[58:59], v[62:63], v[48:49]
	v_add_f64 v[62:63], v[64:65], v[56:57]
	v_fma_f64 v[64:65], v[1:2], v[14:15], -v[66:67]
	s_waitcnt vmcnt(5) lgkmcnt(0)
	v_mul_f64 v[66:67], v[7:8], v[20:21]
	ds_read_b128 v[10:13], v29 offset:11616
	v_fma_f64 v[14:15], v[3:4], v[14:15], v[16:17]
	ds_read_b128 v[1:4], v29 offset:13552
	v_mul_f64 v[16:17], v[5:6], v[20:21]
	v_add_f64 v[58:59], v[58:59], v[54:55]
	v_add_f64 v[20:21], v[62:63], v[60:61]
	s_waitcnt vmcnt(4) lgkmcnt(1)
	v_mul_f64 v[62:63], v[12:13], v[24:25]
	v_fma_f64 v[66:67], v[5:6], v[18:19], -v[66:67]
	v_mul_f64 v[24:25], v[10:11], v[24:25]
	v_fma_f64 v[16:17], v[7:8], v[18:19], v[16:17]
	v_add_f64 v[5:6], v[58:59], v[64:65]
	v_add_f64 v[18:19], v[20:21], v[14:15]
	v_fma_f64 v[20:21], v[10:11], v[22:23], -v[62:63]
	s_waitcnt vmcnt(3) lgkmcnt(0)
	v_mul_f64 v[58:59], v[3:4], v[32:33]
	v_fma_f64 v[22:23], v[12:13], v[22:23], v[24:25]
	v_mul_f64 v[24:25], v[1:2], v[32:33]
	ds_read_b128 v[10:13], v29 offset:17424
	v_add_f64 v[62:63], v[5:6], v[66:67]
	ds_read_b128 v[5:8], v29 offset:15488
	v_add_f64 v[18:19], v[18:19], v[16:17]
	v_fma_f64 v[58:59], v[1:2], v[30:31], -v[58:59]
	v_fma_f64 v[24:25], v[3:4], v[30:31], v[24:25]
	s_waitcnt vmcnt(2) lgkmcnt(0)
	v_mul_f64 v[32:33], v[7:8], v[36:37]
	v_mul_f64 v[36:37], v[5:6], v[36:37]
	v_add_f64 v[62:63], v[62:63], v[20:21]
	s_waitcnt vmcnt(1)
	v_mul_f64 v[30:31], v[12:13], v[40:41]
	v_add_f64 v[18:19], v[18:19], v[22:23]
	ds_read_b128 v[1:4], v29 offset:19360
	s_waitcnt lgkmcnt(0)
	v_add_f64 v[100:101], v[14:15], v[24:25]
	v_fma_f64 v[5:6], v[5:6], v[34:35], -v[32:33]
	v_fma_f64 v[7:8], v[7:8], v[34:35], v[36:37]
	v_add_f64 v[32:33], v[62:63], v[58:59]
	v_mul_f64 v[34:35], v[10:11], v[40:41]
	s_waitcnt vmcnt(0)
	v_mul_f64 v[36:37], v[1:2], v[44:45]
	v_add_f64 v[18:19], v[18:19], v[24:25]
	v_fma_f64 v[10:11], v[10:11], v[38:39], -v[30:31]
	v_mul_f64 v[30:31], v[3:4], v[44:45]
	v_add_f64 v[90:91], v[54:55], -v[5:6]
	v_add_f64 v[88:89], v[60:61], -v[7:8]
	v_add_f64 v[32:33], v[32:33], v[5:6]
	v_fma_f64 v[12:13], v[12:13], v[38:39], v[34:35]
	v_fma_f64 v[34:35], v[3:4], v[42:43], v[36:37]
	v_add_f64 v[3:4], v[18:19], v[7:8]
	v_add_f64 v[86:87], v[48:49], -v[10:11]
	v_fma_f64 v[18:19], v[1:2], v[42:43], -v[30:31]
	v_add_f64 v[48:49], v[48:49], v[10:11]
	v_add_f64 v[54:55], v[54:55], v[5:6]
	;; [unrolled: 1-line block ×3, first 2 shown]
	v_mul_f64 v[5:6], v[88:89], s[4:5]
	v_add_f64 v[30:31], v[46:47], -v[34:35]
	v_add_f64 v[3:4], v[3:4], v[12:13]
	v_add_f64 v[60:61], v[60:61], v[7:8]
	;; [unrolled: 1-line block ×3, first 2 shown]
	v_mul_f64 v[7:8], v[90:91], s[4:5]
	v_mul_f64 v[104:105], v[88:89], s[24:25]
	v_add_f64 v[1:2], v[1:2], v[18:19]
	v_add_f64 v[18:19], v[26:27], -v[18:19]
	v_mul_f64 v[36:37], v[30:31], s[22:23]
	v_add_f64 v[3:4], v[3:4], v[34:35]
	v_mul_f64 v[38:39], v[30:31], s[42:43]
	v_add_f64 v[34:35], v[46:47], v[34:35]
	v_mul_f64 v[40:41], v[30:31], s[4:5]
	v_mul_f64 v[26:27], v[30:31], s[10:11]
	;; [unrolled: 1-line block ×5, first 2 shown]
	v_fma_f64 v[42:43], v[32:33], s[6:7], -v[36:37]
	v_fma_f64 v[36:37], v[32:33], s[6:7], v[36:37]
	v_fma_f64 v[44:45], v[32:33], s[2:3], -v[38:39]
	v_fma_f64 v[38:39], v[32:33], s[2:3], v[38:39]
	;; [unrolled: 2-line block ×4, first 2 shown]
	v_fma_f64 v[72:73], v[32:33], s[12:13], -v[30:31]
	v_mul_f64 v[74:75], v[18:19], s[4:5]
	v_fma_f64 v[30:31], v[32:33], s[12:13], v[30:31]
	v_mul_f64 v[32:33], v[18:19], s[10:11]
	v_mul_f64 v[18:19], v[18:19], s[14:15]
	v_fma_f64 v[76:77], v[34:35], s[6:7], v[68:69]
	v_fma_f64 v[78:79], v[34:35], s[2:3], v[70:71]
	v_fma_f64 v[68:69], v[34:35], s[6:7], -v[68:69]
	v_fma_f64 v[70:71], v[34:35], s[2:3], -v[70:71]
	v_fma_f64 v[80:81], v[34:35], s[0:1], v[74:75]
	v_fma_f64 v[74:75], v[34:35], s[0:1], -v[74:75]
	v_fma_f64 v[82:83], v[34:35], s[8:9], v[32:33]
	;; [unrolled: 2-line block ×3, first 2 shown]
	v_fma_f64 v[18:19], v[34:35], s[12:13], -v[18:19]
	v_add_f64 v[34:35], v[50:51], v[42:43]
	v_add_f64 v[42:43], v[52:53], v[76:77]
	;; [unrolled: 1-line block ×3, first 2 shown]
	v_add_f64 v[78:79], v[56:57], -v[12:13]
	v_add_f64 v[56:57], v[56:57], v[12:13]
	v_mul_f64 v[12:13], v[86:87], s[42:43]
	v_fma_f64 v[96:97], v[54:55], s[0:1], -v[5:6]
	v_add_f64 v[68:69], v[52:53], v[68:69]
	v_add_f64 v[70:71], v[52:53], v[70:71]
	;; [unrolled: 1-line block ×4, first 2 shown]
	v_mul_f64 v[10:11], v[78:79], s[42:43]
	v_add_f64 v[82:83], v[52:53], v[82:83]
	v_fma_f64 v[94:95], v[56:57], s[2:3], v[12:13]
	v_add_f64 v[32:33], v[52:53], v[32:33]
	v_add_f64 v[84:85], v[52:53], v[84:85]
	v_fma_f64 v[98:99], v[60:61], s[0:1], v[7:8]
	v_add_f64 v[52:53], v[52:53], v[18:19]
	v_add_f64 v[36:37], v[50:51], v[36:37]
	v_fma_f64 v[92:93], v[48:49], s[2:3], -v[10:11]
	v_add_f64 v[44:45], v[50:51], v[44:45]
	v_add_f64 v[42:43], v[94:95], v[42:43]
	v_add_f64 v[94:95], v[64:65], -v[58:59]
	v_add_f64 v[58:59], v[64:65], v[58:59]
	v_add_f64 v[38:39], v[50:51], v[38:39]
	;; [unrolled: 1-line block ×5, first 2 shown]
	v_add_f64 v[92:93], v[14:15], -v[24:25]
	v_add_f64 v[62:63], v[50:51], v[62:63]
	v_mul_f64 v[18:19], v[94:95], s[10:11]
	v_add_f64 v[26:27], v[50:51], v[26:27]
	v_add_f64 v[72:73], v[50:51], v[72:73]
	;; [unrolled: 1-line block ×5, first 2 shown]
	v_mul_f64 v[14:15], v[92:93], s[10:11]
	v_add_f64 v[34:35], v[16:17], -v[22:23]
	v_add_f64 v[42:43], v[66:67], -v[20:21]
	v_fma_f64 v[10:11], v[48:49], s[2:3], v[10:11]
	v_fma_f64 v[12:13], v[56:57], s[2:3], -v[12:13]
	v_fma_f64 v[96:97], v[100:101], s[8:9], v[18:19]
	v_add_f64 v[98:99], v[16:17], v[22:23]
	v_add_f64 v[66:67], v[66:67], v[20:21]
	v_fma_f64 v[64:65], v[58:59], s[8:9], -v[14:15]
	v_mul_f64 v[16:17], v[34:35], s[14:15]
	v_mul_f64 v[20:21], v[42:43], s[14:15]
	v_add_f64 v[10:11], v[10:11], v[36:37]
	v_add_f64 v[12:13], v[12:13], v[68:69]
	v_fma_f64 v[5:6], v[54:55], s[0:1], v[5:6]
	v_fma_f64 v[7:8], v[60:61], s[0:1], -v[7:8]
	v_mul_f64 v[68:69], v[86:87], s[10:11]
	v_add_f64 v[22:23], v[64:65], v[24:25]
	v_add_f64 v[24:25], v[96:97], v[30:31]
	v_fma_f64 v[30:31], v[66:67], s[12:13], -v[16:17]
	v_mul_f64 v[64:65], v[78:79], s[10:11]
	v_fma_f64 v[36:37], v[98:99], s[12:13], v[20:21]
	v_add_f64 v[10:11], v[5:6], v[10:11]
	v_add_f64 v[12:13], v[7:8], v[12:13]
	v_fma_f64 v[14:15], v[58:59], s[8:9], v[14:15]
	v_fma_f64 v[18:19], v[100:101], s[8:9], -v[18:19]
	v_mul_f64 v[106:107], v[90:91], s[24:25]
	v_add_f64 v[5:6], v[30:31], v[22:23]
	v_fma_f64 v[22:23], v[48:49], s[8:9], -v[64:65]
	v_mul_f64 v[30:31], v[88:89], s[40:41]
	v_add_f64 v[7:8], v[36:37], v[24:25]
	v_fma_f64 v[24:25], v[56:57], s[8:9], v[68:69]
	v_mul_f64 v[36:37], v[90:91], s[40:41]
	v_add_f64 v[10:11], v[14:15], v[10:11]
	v_add_f64 v[12:13], v[18:19], v[12:13]
	v_fma_f64 v[14:15], v[66:67], s[12:13], v[16:17]
	v_add_f64 v[18:19], v[22:23], v[44:45]
	v_fma_f64 v[22:23], v[54:55], s[12:13], -v[30:31]
	v_mul_f64 v[44:45], v[92:93], s[38:39]
	v_fma_f64 v[16:17], v[98:99], s[12:13], -v[20:21]
	v_add_f64 v[20:21], v[24:25], v[76:77]
	v_fma_f64 v[24:25], v[60:61], s[12:13], v[36:37]
	v_mul_f64 v[76:77], v[94:95], s[38:39]
	v_add_f64 v[10:11], v[14:15], v[10:11]
	v_fma_f64 v[14:15], v[48:49], s[8:9], v[64:65]
	v_add_f64 v[18:19], v[22:23], v[18:19]
	v_fma_f64 v[22:23], v[58:59], s[0:1], -v[44:45]
	v_add_f64 v[12:13], v[16:17], v[12:13]
	v_fma_f64 v[16:17], v[56:57], s[8:9], -v[68:69]
	v_add_f64 v[20:21], v[24:25], v[20:21]
	v_fma_f64 v[24:25], v[100:101], s[0:1], v[76:77]
	v_mul_f64 v[64:65], v[34:35], s[36:37]
	v_add_f64 v[14:15], v[14:15], v[38:39]
	v_fma_f64 v[30:31], v[54:55], s[12:13], v[30:31]
	v_add_f64 v[18:19], v[22:23], v[18:19]
	v_mul_f64 v[22:23], v[78:79], s[40:41]
	v_mul_f64 v[68:69], v[42:43], s[36:37]
	v_add_f64 v[16:17], v[16:17], v[70:71]
	v_fma_f64 v[36:37], v[60:61], s[12:13], -v[36:37]
	v_add_f64 v[20:21], v[24:25], v[20:21]
	v_mul_f64 v[24:25], v[86:87], s[40:41]
	v_fma_f64 v[38:39], v[66:67], s[6:7], -v[64:65]
	v_add_f64 v[30:31], v[30:31], v[14:15]
	v_fma_f64 v[44:45], v[58:59], s[0:1], v[44:45]
	v_fma_f64 v[96:97], v[48:49], s[12:13], -v[22:23]
	v_fma_f64 v[70:71], v[98:99], s[6:7], v[68:69]
	v_add_f64 v[36:37], v[36:37], v[16:17]
	v_fma_f64 v[76:77], v[100:101], s[0:1], -v[76:77]
	v_fma_f64 v[102:103], v[56:57], s[12:13], v[24:25]
	v_add_f64 v[14:15], v[38:39], v[18:19]
	v_fma_f64 v[38:39], v[54:55], s[2:3], -v[104:105]
	v_add_f64 v[18:19], v[44:45], v[30:31]
	v_add_f64 v[30:31], v[96:97], v[46:47]
	v_mul_f64 v[46:47], v[92:93], s[22:23]
	v_add_f64 v[16:17], v[70:71], v[20:21]
	v_add_f64 v[20:21], v[76:77], v[36:37]
	;; [unrolled: 1-line block ×3, first 2 shown]
	v_fma_f64 v[44:45], v[60:61], s[2:3], v[106:107]
	v_mul_f64 v[70:71], v[94:95], s[22:23]
	v_fma_f64 v[22:23], v[48:49], s[12:13], v[22:23]
	v_fma_f64 v[24:25], v[56:57], s[12:13], -v[24:25]
	v_add_f64 v[30:31], v[38:39], v[30:31]
	v_fma_f64 v[38:39], v[58:59], s[6:7], -v[46:47]
	v_fma_f64 v[64:65], v[66:67], s[6:7], v[64:65]
	v_fma_f64 v[68:69], v[98:99], s[6:7], -v[68:69]
	v_add_f64 v[36:37], v[44:45], v[36:37]
	v_fma_f64 v[44:45], v[100:101], s[6:7], v[70:71]
	v_mul_f64 v[76:77], v[34:35], s[10:11]
	v_mul_f64 v[80:81], v[42:43], s[10:11]
	v_add_f64 v[22:23], v[22:23], v[40:41]
	v_add_f64 v[24:25], v[24:25], v[74:75]
	v_fma_f64 v[40:41], v[54:55], s[2:3], v[104:105]
	v_fma_f64 v[74:75], v[60:61], s[2:3], -v[106:107]
	v_add_f64 v[30:31], v[38:39], v[30:31]
	v_mul_f64 v[38:39], v[78:79], s[38:39]
	v_add_f64 v[18:19], v[64:65], v[18:19]
	v_add_f64 v[36:37], v[44:45], v[36:37]
	v_fma_f64 v[44:45], v[66:67], s[8:9], -v[76:77]
	v_fma_f64 v[64:65], v[98:99], s[8:9], v[80:81]
	v_add_f64 v[40:41], v[40:41], v[22:23]
	v_add_f64 v[74:75], v[74:75], v[24:25]
	v_fma_f64 v[46:47], v[58:59], s[6:7], v[46:47]
	v_fma_f64 v[70:71], v[100:101], s[6:7], -v[70:71]
	v_add_f64 v[20:21], v[68:69], v[20:21]
	v_fma_f64 v[68:69], v[48:49], s[0:1], -v[38:39]
	v_mul_f64 v[96:97], v[86:87], s[38:39]
	v_mul_f64 v[102:103], v[88:89], s[22:23]
	v_add_f64 v[22:23], v[44:45], v[30:31]
	v_add_f64 v[24:25], v[64:65], v[36:37]
	;; [unrolled: 1-line block ×4, first 2 shown]
	v_fma_f64 v[40:41], v[66:67], s[8:9], v[76:77]
	v_add_f64 v[44:45], v[68:69], v[62:63]
	v_fma_f64 v[46:47], v[56:57], s[0:1], v[96:97]
	v_fma_f64 v[62:63], v[54:55], s[6:7], -v[102:103]
	v_mul_f64 v[64:65], v[90:91], s[22:23]
	v_fma_f64 v[38:39], v[48:49], s[0:1], v[38:39]
	v_fma_f64 v[74:75], v[56:57], s[0:1], -v[96:97]
	v_fma_f64 v[68:69], v[98:99], s[8:9], -v[80:81]
	v_add_f64 v[30:31], v[40:41], v[30:31]
	v_mul_f64 v[70:71], v[92:93], s[14:15]
	v_add_f64 v[40:41], v[46:47], v[82:83]
	v_add_f64 v[44:45], v[62:63], v[44:45]
	v_fma_f64 v[46:47], v[60:61], s[6:7], v[64:65]
	v_mul_f64 v[62:63], v[94:95], s[14:15]
	v_add_f64 v[26:27], v[38:39], v[26:27]
	v_add_f64 v[38:39], v[74:75], v[32:33]
	v_fma_f64 v[64:65], v[60:61], s[6:7], -v[64:65]
	v_fma_f64 v[74:75], v[54:55], s[6:7], v[102:103]
	v_add_f64 v[32:33], v[68:69], v[36:37]
	v_mul_f64 v[68:69], v[86:87], s[36:37]
	v_add_f64 v[36:37], v[46:47], v[40:41]
	v_fma_f64 v[40:41], v[100:101], s[12:13], v[62:63]
	v_mul_f64 v[46:47], v[78:79], s[36:37]
	v_fma_f64 v[62:63], v[100:101], s[12:13], -v[62:63]
	v_add_f64 v[38:39], v[64:65], v[38:39]
	v_fma_f64 v[76:77], v[58:59], s[12:13], -v[70:71]
	v_add_f64 v[26:27], v[74:75], v[26:27]
	v_fma_f64 v[64:65], v[58:59], s[12:13], v[70:71]
	v_fma_f64 v[70:71], v[56:57], s[6:7], v[68:69]
	v_add_f64 v[36:37], v[40:41], v[36:37]
	v_fma_f64 v[40:41], v[48:49], s[6:7], -v[46:47]
	v_mul_f64 v[74:75], v[88:89], s[10:11]
	v_fma_f64 v[46:47], v[48:49], s[6:7], v[46:47]
	v_mul_f64 v[48:49], v[90:91], s[10:11]
	v_add_f64 v[62:63], v[62:63], v[38:39]
	v_fma_f64 v[38:39], v[56:57], s[6:7], -v[68:69]
	v_add_f64 v[26:27], v[64:65], v[26:27]
	v_add_f64 v[56:57], v[70:71], v[84:85]
	;; [unrolled: 1-line block ×3, first 2 shown]
	v_fma_f64 v[64:65], v[54:55], s[8:9], -v[74:75]
	v_add_f64 v[46:47], v[46:47], v[50:51]
	v_fma_f64 v[50:51], v[60:61], s[8:9], v[48:49]
	v_fma_f64 v[54:55], v[54:55], s[8:9], v[74:75]
	v_add_f64 v[38:39], v[38:39], v[52:53]
	v_fma_f64 v[48:49], v[60:61], s[8:9], -v[48:49]
	v_mul_f64 v[52:53], v[92:93], s[24:25]
	v_mul_f64 v[60:61], v[94:95], s[24:25]
	;; [unrolled: 1-line block ×3, first 2 shown]
	v_add_f64 v[40:41], v[64:65], v[40:41]
	v_add_f64 v[50:51], v[50:51], v[56:57]
	v_add_f64 v[46:47], v[54:55], v[46:47]
	v_mul_f64 v[54:55], v[42:43], s[24:25]
	v_add_f64 v[38:39], v[48:49], v[38:39]
	v_fma_f64 v[48:49], v[58:59], s[2:3], -v[52:53]
	v_fma_f64 v[52:53], v[58:59], s[2:3], v[52:53]
	v_fma_f64 v[58:59], v[100:101], s[2:3], v[60:61]
	v_mul_f64 v[34:35], v[34:35], s[4:5]
	v_mul_f64 v[42:43], v[42:43], s[4:5]
	v_fma_f64 v[60:61], v[100:101], s[2:3], -v[60:61]
	v_fma_f64 v[56:57], v[66:67], s[2:3], -v[68:69]
	v_fma_f64 v[68:69], v[66:67], s[2:3], v[68:69]
	v_add_f64 v[48:49], v[48:49], v[40:41]
	v_add_f64 v[46:47], v[52:53], v[46:47]
	;; [unrolled: 1-line block ×3, first 2 shown]
	v_fma_f64 v[58:59], v[66:67], s[0:1], -v[34:35]
	v_add_f64 v[44:45], v[76:77], v[44:45]
	v_add_f64 v[52:53], v[60:61], v[38:39]
	v_fma_f64 v[60:61], v[66:67], s[0:1], v[34:35]
	v_fma_f64 v[66:67], v[98:99], s[0:1], -v[42:43]
	v_fma_f64 v[64:65], v[98:99], s[2:3], v[54:55]
	v_fma_f64 v[54:55], v[98:99], s[2:3], -v[54:55]
	v_fma_f64 v[70:71], v[98:99], s[0:1], v[42:43]
	v_add_f64 v[42:43], v[58:59], v[48:49]
	v_add_f64 v[34:35], v[56:57], v[44:45]
	;; [unrolled: 1-line block ×8, first 2 shown]
	s_lshl_b64 s[2:3], s[28:29], 4
	s_barrier
	ds_write_b128 v29, v[1:4]
	ds_write_b128 v29, v[5:8] offset:1936
	ds_write_b128 v29, v[14:17] offset:3872
	;; [unrolled: 1-line block ×5, first 2 shown]
	s_mul_i32 s0, s44, s30
	s_mov_b32 s1, s21
	v_mul_lo_u32 v8, v0, s34
	s_add_u32 s2, s26, s2
	s_addc_u32 s3, s27, s3
	s_lshl_b64 s[0:1], s[0:1], 4
	s_add_u32 s2, s2, s0
	ds_write_b128 v29, v[46:49] offset:11616
	ds_write_b128 v29, v[38:41] offset:13552
	;; [unrolled: 1-line block ×5, first 2 shown]
	s_waitcnt lgkmcnt(0)
	s_barrier
	ds_read_b128 v[1:4], v28
	ds_read_b128 v[10:13], v28 offset:1936
	s_addc_u32 s3, s3, s1
	s_lshl_b64 s[0:1], s[18:19], 4
	s_add_u32 s0, s2, s0
	v_lshlrev_b64 v[5:6], 4, v[8:9]
	s_addc_u32 s1, s3, s1
	v_mov_b32_e32 v7, s1
	v_add_co_u32_e32 v5, vcc, s0, v5
	s_mul_i32 s2, s34, 0x79
	v_addc_co_u32_e32 v6, vcc, v7, v6, vcc
	v_add_u32_e32 v8, s2, v8
	s_waitcnt lgkmcnt(1)
	global_store_dwordx4 v[5:6], v[1:4], off
	s_nop 0
	v_lshlrev_b64 v[1:2], 4, v[8:9]
	v_mov_b32_e32 v3, s1
	v_add_co_u32_e32 v1, vcc, s0, v1
	v_addc_co_u32_e32 v2, vcc, v3, v2, vcc
	s_waitcnt lgkmcnt(0)
	global_store_dwordx4 v[1:2], v[10:13], off
	v_add_u32_e32 v8, s2, v8
	ds_read_b128 v[1:4], v28 offset:3872
	ds_read_b128 v[10:13], v28 offset:5808
	v_lshlrev_b64 v[5:6], 4, v[8:9]
	v_add_u32_e32 v8, s2, v8
	v_add_co_u32_e32 v5, vcc, s0, v5
	v_addc_co_u32_e32 v6, vcc, v7, v6, vcc
	s_waitcnt lgkmcnt(1)
	global_store_dwordx4 v[5:6], v[1:4], off
	s_nop 0
	v_lshlrev_b64 v[1:2], 4, v[8:9]
	v_mov_b32_e32 v3, s1
	v_add_co_u32_e32 v1, vcc, s0, v1
	v_addc_co_u32_e32 v2, vcc, v3, v2, vcc
	s_waitcnt lgkmcnt(0)
	global_store_dwordx4 v[1:2], v[10:13], off
	v_add_u32_e32 v8, s2, v8
	ds_read_b128 v[1:4], v28 offset:7744
	ds_read_b128 v[10:13], v28 offset:9680
	v_lshlrev_b64 v[5:6], 4, v[8:9]
	v_add_u32_e32 v8, s2, v8
	v_add_co_u32_e32 v5, vcc, s0, v5
	v_addc_co_u32_e32 v6, vcc, v7, v6, vcc
	;; [unrolled: 16-line block ×4, first 2 shown]
	s_waitcnt lgkmcnt(1)
	global_store_dwordx4 v[5:6], v[1:4], off
	s_nop 0
	v_lshlrev_b64 v[1:2], 4, v[8:9]
	v_mov_b32_e32 v3, s1
	v_add_co_u32_e32 v1, vcc, s0, v1
	v_addc_co_u32_e32 v2, vcc, v3, v2, vcc
	v_add_u32_e32 v8, s2, v8
	s_waitcnt lgkmcnt(0)
	global_store_dwordx4 v[1:2], v[10:13], off
	ds_read_b128 v[1:4], v28 offset:19360
	v_lshlrev_b64 v[5:6], 4, v[8:9]
	v_add_co_u32_e32 v5, vcc, s0, v5
	v_addc_co_u32_e32 v6, vcc, v7, v6, vcc
	v_cmp_eq_u32_e32 vcc, 0, v0
	s_waitcnt lgkmcnt(0)
	global_store_dwordx4 v[5:6], v[1:4], off
	s_and_saveexec_b64 s[2:3], vcc
	s_cbranch_execz .LBB0_2
; %bb.1:
	ds_read_b128 v[0:3], v9 offset:21296
	s_mul_i32 s20, s34, 0x533
	s_lshl_b64 s[2:3], s[20:21], 4
	s_add_u32 s0, s0, s2
	s_addc_u32 s1, s1, s3
	s_waitcnt lgkmcnt(0)
	global_store_dwordx4 v9, v[0:3], s[0:1]
.LBB0_2:
	s_endpgm
	.section	.rodata,"a",@progbits
	.p2align	6, 0x0
	.amdhsa_kernel fft_rtc_fwd_len1331_factors_11_11_11_wgs_121_tpt_121_dp_op_CI_CI_sbrc_erc_z_xy_aligned
		.amdhsa_group_segment_fixed_size 0
		.amdhsa_private_segment_fixed_size 0
		.amdhsa_kernarg_size 104
		.amdhsa_user_sgpr_count 6
		.amdhsa_user_sgpr_private_segment_buffer 1
		.amdhsa_user_sgpr_dispatch_ptr 0
		.amdhsa_user_sgpr_queue_ptr 0
		.amdhsa_user_sgpr_kernarg_segment_ptr 1
		.amdhsa_user_sgpr_dispatch_id 0
		.amdhsa_user_sgpr_flat_scratch_init 0
		.amdhsa_user_sgpr_private_segment_size 0
		.amdhsa_uses_dynamic_stack 0
		.amdhsa_system_sgpr_private_segment_wavefront_offset 0
		.amdhsa_system_sgpr_workgroup_id_x 1
		.amdhsa_system_sgpr_workgroup_id_y 0
		.amdhsa_system_sgpr_workgroup_id_z 0
		.amdhsa_system_sgpr_workgroup_info 0
		.amdhsa_system_vgpr_workitem_id 0
		.amdhsa_next_free_vgpr 109
		.amdhsa_next_free_sgpr 46
		.amdhsa_reserve_vcc 1
		.amdhsa_reserve_flat_scratch 0
		.amdhsa_float_round_mode_32 0
		.amdhsa_float_round_mode_16_64 0
		.amdhsa_float_denorm_mode_32 3
		.amdhsa_float_denorm_mode_16_64 3
		.amdhsa_dx10_clamp 1
		.amdhsa_ieee_mode 1
		.amdhsa_fp16_overflow 0
		.amdhsa_exception_fp_ieee_invalid_op 0
		.amdhsa_exception_fp_denorm_src 0
		.amdhsa_exception_fp_ieee_div_zero 0
		.amdhsa_exception_fp_ieee_overflow 0
		.amdhsa_exception_fp_ieee_underflow 0
		.amdhsa_exception_fp_ieee_inexact 0
		.amdhsa_exception_int_div_zero 0
	.end_amdhsa_kernel
	.text
.Lfunc_end0:
	.size	fft_rtc_fwd_len1331_factors_11_11_11_wgs_121_tpt_121_dp_op_CI_CI_sbrc_erc_z_xy_aligned, .Lfunc_end0-fft_rtc_fwd_len1331_factors_11_11_11_wgs_121_tpt_121_dp_op_CI_CI_sbrc_erc_z_xy_aligned
                                        ; -- End function
	.section	.AMDGPU.csdata,"",@progbits
; Kernel info:
; codeLenInByte = 11352
; NumSgprs: 50
; NumVgprs: 109
; ScratchSize: 0
; MemoryBound: 0
; FloatMode: 240
; IeeeMode: 1
; LDSByteSize: 0 bytes/workgroup (compile time only)
; SGPRBlocks: 6
; VGPRBlocks: 27
; NumSGPRsForWavesPerEU: 50
; NumVGPRsForWavesPerEU: 109
; Occupancy: 2
; WaveLimiterHint : 1
; COMPUTE_PGM_RSRC2:SCRATCH_EN: 0
; COMPUTE_PGM_RSRC2:USER_SGPR: 6
; COMPUTE_PGM_RSRC2:TRAP_HANDLER: 0
; COMPUTE_PGM_RSRC2:TGID_X_EN: 1
; COMPUTE_PGM_RSRC2:TGID_Y_EN: 0
; COMPUTE_PGM_RSRC2:TGID_Z_EN: 0
; COMPUTE_PGM_RSRC2:TIDIG_COMP_CNT: 0
	.type	__hip_cuid_8742bb7869d509a9,@object ; @__hip_cuid_8742bb7869d509a9
	.section	.bss,"aw",@nobits
	.globl	__hip_cuid_8742bb7869d509a9
__hip_cuid_8742bb7869d509a9:
	.byte	0                               ; 0x0
	.size	__hip_cuid_8742bb7869d509a9, 1

	.ident	"AMD clang version 19.0.0git (https://github.com/RadeonOpenCompute/llvm-project roc-6.4.0 25133 c7fe45cf4b819c5991fe208aaa96edf142730f1d)"
	.section	".note.GNU-stack","",@progbits
	.addrsig
	.addrsig_sym __hip_cuid_8742bb7869d509a9
	.amdgpu_metadata
---
amdhsa.kernels:
  - .args:
      - .actual_access:  read_only
        .address_space:  global
        .offset:         0
        .size:           8
        .value_kind:     global_buffer
      - .offset:         8
        .size:           8
        .value_kind:     by_value
      - .actual_access:  read_only
        .address_space:  global
        .offset:         16
        .size:           8
        .value_kind:     global_buffer
      - .actual_access:  read_only
        .address_space:  global
        .offset:         24
        .size:           8
        .value_kind:     global_buffer
      - .actual_access:  read_only
        .address_space:  global
        .offset:         32
        .size:           8
        .value_kind:     global_buffer
      - .offset:         40
        .size:           8
        .value_kind:     by_value
      - .actual_access:  read_only
        .address_space:  global
        .offset:         48
        .size:           8
        .value_kind:     global_buffer
      - .actual_access:  read_only
        .address_space:  global
        .offset:         56
        .size:           8
        .value_kind:     global_buffer
      - .offset:         64
        .size:           4
        .value_kind:     by_value
      - .actual_access:  read_only
        .address_space:  global
        .offset:         72
        .size:           8
        .value_kind:     global_buffer
      - .actual_access:  read_only
        .address_space:  global
        .offset:         80
        .size:           8
        .value_kind:     global_buffer
      - .actual_access:  read_only
        .address_space:  global
        .offset:         88
        .size:           8
        .value_kind:     global_buffer
      - .actual_access:  write_only
        .address_space:  global
        .offset:         96
        .size:           8
        .value_kind:     global_buffer
    .group_segment_fixed_size: 0
    .kernarg_segment_align: 8
    .kernarg_segment_size: 104
    .language:       OpenCL C
    .language_version:
      - 2
      - 0
    .max_flat_workgroup_size: 121
    .name:           fft_rtc_fwd_len1331_factors_11_11_11_wgs_121_tpt_121_dp_op_CI_CI_sbrc_erc_z_xy_aligned
    .private_segment_fixed_size: 0
    .sgpr_count:     50
    .sgpr_spill_count: 0
    .symbol:         fft_rtc_fwd_len1331_factors_11_11_11_wgs_121_tpt_121_dp_op_CI_CI_sbrc_erc_z_xy_aligned.kd
    .uniform_work_group_size: 1
    .uses_dynamic_stack: false
    .vgpr_count:     109
    .vgpr_spill_count: 0
    .wavefront_size: 64
amdhsa.target:   amdgcn-amd-amdhsa--gfx906
amdhsa.version:
  - 1
  - 2
...

	.end_amdgpu_metadata
